;; amdgpu-corpus repo=ROCm/rocFFT kind=compiled arch=gfx950 opt=O3
	.text
	.amdgcn_target "amdgcn-amd-amdhsa--gfx950"
	.amdhsa_code_object_version 6
	.protected	fft_rtc_fwd_len104_factors_13_8_wgs_64_tpt_8_halfLds_sp_op_CI_CI_unitstride_sbrr_C2R_dirReg ; -- Begin function fft_rtc_fwd_len104_factors_13_8_wgs_64_tpt_8_halfLds_sp_op_CI_CI_unitstride_sbrr_C2R_dirReg
	.globl	fft_rtc_fwd_len104_factors_13_8_wgs_64_tpt_8_halfLds_sp_op_CI_CI_unitstride_sbrr_C2R_dirReg
	.p2align	8
	.type	fft_rtc_fwd_len104_factors_13_8_wgs_64_tpt_8_halfLds_sp_op_CI_CI_unitstride_sbrr_C2R_dirReg,@function
fft_rtc_fwd_len104_factors_13_8_wgs_64_tpt_8_halfLds_sp_op_CI_CI_unitstride_sbrr_C2R_dirReg: ; @fft_rtc_fwd_len104_factors_13_8_wgs_64_tpt_8_halfLds_sp_op_CI_CI_unitstride_sbrr_C2R_dirReg
; %bb.0:
	s_load_dwordx4 s[4:7], s[0:1], 0x58
	s_load_dwordx4 s[8:11], s[0:1], 0x0
	;; [unrolled: 1-line block ×3, first 2 shown]
	v_lshrrev_b32_e32 v1, 3, v0
	v_lshl_or_b32 v6, s2, 3, v1
	v_mov_b32_e32 v4, 0
	s_waitcnt lgkmcnt(0)
	v_cmp_lt_u64_e64 s[2:3], s[10:11], 2
	v_mov_b32_e32 v7, v4
	s_and_b64 vcc, exec, s[2:3]
	v_mov_b64_e32 v[2:3], 0
	s_cbranch_vccnz .LBB0_8
; %bb.1:
	s_load_dwordx2 s[2:3], s[0:1], 0x10
	s_add_u32 s16, s14, 8
	s_addc_u32 s17, s15, 0
	s_add_u32 s18, s12, 8
	s_addc_u32 s19, s13, 0
	s_waitcnt lgkmcnt(0)
	s_add_u32 s20, s2, 8
	v_mov_b64_e32 v[2:3], 0
	s_addc_u32 s21, s3, 0
	s_mov_b64 s[22:23], 1
	v_mov_b64_e32 v[28:29], v[2:3]
.LBB0_2:                                ; =>This Inner Loop Header: Depth=1
	s_load_dwordx2 s[24:25], s[20:21], 0x0
                                        ; implicit-def: $vgpr30_vgpr31
	s_waitcnt lgkmcnt(0)
	v_or_b32_e32 v5, s25, v7
	v_cmp_ne_u64_e32 vcc, 0, v[4:5]
	s_and_saveexec_b64 s[2:3], vcc
	s_xor_b64 s[26:27], exec, s[2:3]
	s_cbranch_execz .LBB0_4
; %bb.3:                                ;   in Loop: Header=BB0_2 Depth=1
	v_cvt_f32_u32_e32 v5, s24
	v_cvt_f32_u32_e32 v8, s25
	s_sub_u32 s2, 0, s24
	s_subb_u32 s3, 0, s25
	v_fmac_f32_e32 v5, 0x4f800000, v8
	v_rcp_f32_e32 v5, v5
	s_nop 0
	v_mul_f32_e32 v5, 0x5f7ffffc, v5
	v_mul_f32_e32 v8, 0x2f800000, v5
	v_trunc_f32_e32 v8, v8
	v_fmac_f32_e32 v5, 0xcf800000, v8
	v_cvt_u32_f32_e32 v12, v8
	v_cvt_u32_f32_e32 v5, v5
	v_mul_lo_u32 v8, s2, v12
	v_mul_hi_u32 v10, s2, v5
	v_mul_lo_u32 v9, s3, v5
	v_add_u32_e32 v10, v10, v8
	v_mul_lo_u32 v13, s2, v5
	v_add_u32_e32 v14, v10, v9
	v_mul_hi_u32 v8, v5, v13
	v_mul_hi_u32 v11, v5, v14
	v_mul_lo_u32 v10, v5, v14
	v_mov_b32_e32 v9, v4
	v_lshl_add_u64 v[8:9], v[8:9], 0, v[10:11]
	v_mul_hi_u32 v11, v12, v13
	v_mul_lo_u32 v13, v12, v13
	v_add_co_u32_e32 v8, vcc, v8, v13
	v_mul_hi_u32 v10, v12, v14
	s_nop 0
	v_addc_co_u32_e32 v8, vcc, v9, v11, vcc
	v_mov_b32_e32 v9, v4
	s_nop 0
	v_addc_co_u32_e32 v11, vcc, 0, v10, vcc
	v_mul_lo_u32 v10, v12, v14
	v_lshl_add_u64 v[8:9], v[8:9], 0, v[10:11]
	v_add_co_u32_e32 v5, vcc, v5, v8
	v_mul_lo_u32 v10, s2, v5
	s_nop 0
	v_addc_co_u32_e32 v12, vcc, v12, v9, vcc
	v_mul_lo_u32 v8, s2, v12
	v_mul_hi_u32 v9, s2, v5
	v_add_u32_e32 v8, v9, v8
	v_mul_lo_u32 v9, s3, v5
	v_add_u32_e32 v13, v8, v9
	v_mul_hi_u32 v15, v12, v10
	v_mul_lo_u32 v16, v12, v10
	v_mul_hi_u32 v9, v5, v13
	v_mul_lo_u32 v8, v5, v13
	v_mul_hi_u32 v10, v5, v10
	v_mov_b32_e32 v11, v4
	v_lshl_add_u64 v[8:9], v[10:11], 0, v[8:9]
	v_add_co_u32_e32 v8, vcc, v8, v16
	v_mul_hi_u32 v14, v12, v13
	s_nop 0
	v_addc_co_u32_e32 v8, vcc, v9, v15, vcc
	v_mul_lo_u32 v10, v12, v13
	s_nop 0
	v_addc_co_u32_e32 v11, vcc, 0, v14, vcc
	v_mov_b32_e32 v9, v4
	v_lshl_add_u64 v[8:9], v[8:9], 0, v[10:11]
	v_add_co_u32_e32 v5, vcc, v5, v8
	v_mul_hi_u32 v10, v6, v5
	s_nop 0
	v_addc_co_u32_e32 v12, vcc, v12, v9, vcc
	v_mad_u64_u32 v[8:9], s[2:3], v6, v12, 0
	v_mov_b32_e32 v11, v4
	v_lshl_add_u64 v[8:9], v[10:11], 0, v[8:9]
	v_mad_u64_u32 v[10:11], s[2:3], v7, v12, 0
	v_mad_u64_u32 v[12:13], s[2:3], v7, v5, 0
	v_add_co_u32_e32 v5, vcc, v8, v12
	s_nop 1
	v_addc_co_u32_e32 v8, vcc, v9, v13, vcc
	v_mov_b32_e32 v9, v4
	s_nop 0
	v_addc_co_u32_e32 v11, vcc, 0, v11, vcc
	v_lshl_add_u64 v[8:9], v[8:9], 0, v[10:11]
	v_mul_lo_u32 v5, s25, v8
	v_mul_lo_u32 v12, s24, v9
	v_mad_u64_u32 v[10:11], s[2:3], s24, v8, 0
	v_add3_u32 v5, v11, v12, v5
	v_sub_u32_e32 v11, v7, v5
	v_mov_b32_e32 v12, s25
	v_sub_co_u32_e32 v14, vcc, v6, v10
	s_nop 1
	v_subb_co_u32_e64 v10, s[2:3], v11, v12, vcc
	v_subrev_co_u32_e64 v11, s[2:3], s24, v14
	v_subb_co_u32_e32 v5, vcc, v7, v5, vcc
	s_nop 0
	v_subbrev_co_u32_e64 v10, s[2:3], 0, v10, s[2:3]
	v_cmp_le_u32_e64 s[2:3], s25, v10
	v_cmp_le_u32_e32 vcc, s25, v5
	s_nop 0
	v_cndmask_b32_e64 v12, 0, -1, s[2:3]
	v_cmp_le_u32_e64 s[2:3], s24, v11
	s_nop 1
	v_cndmask_b32_e64 v11, 0, -1, s[2:3]
	v_cmp_eq_u32_e64 s[2:3], s25, v10
	s_nop 1
	v_cndmask_b32_e64 v15, v12, v11, s[2:3]
	v_lshl_add_u64 v[10:11], v[8:9], 0, 2
	v_lshl_add_u64 v[12:13], v[8:9], 0, 1
	v_cmp_ne_u32_e64 s[2:3], 0, v15
	s_nop 1
	v_cndmask_b32_e64 v11, v13, v11, s[2:3]
	v_cndmask_b32_e64 v13, 0, -1, vcc
	v_cmp_le_u32_e32 vcc, s24, v14
	s_nop 1
	v_cndmask_b32_e64 v14, 0, -1, vcc
	v_cmp_eq_u32_e32 vcc, s25, v5
	s_nop 1
	v_cndmask_b32_e32 v5, v13, v14, vcc
	v_cmp_ne_u32_e32 vcc, 0, v5
	v_cndmask_b32_e64 v5, v12, v10, s[2:3]
	s_nop 0
	v_cndmask_b32_e32 v31, v9, v11, vcc
	v_cndmask_b32_e32 v30, v8, v5, vcc
.LBB0_4:                                ;   in Loop: Header=BB0_2 Depth=1
	s_andn2_saveexec_b64 s[2:3], s[26:27]
	s_cbranch_execz .LBB0_6
; %bb.5:                                ;   in Loop: Header=BB0_2 Depth=1
	v_cvt_f32_u32_e32 v5, s24
	s_sub_i32 s26, 0, s24
	v_mov_b32_e32 v31, v4
	v_rcp_iflag_f32_e32 v5, v5
	s_nop 0
	v_mul_f32_e32 v5, 0x4f7ffffe, v5
	v_cvt_u32_f32_e32 v5, v5
	v_mul_lo_u32 v8, s26, v5
	v_mul_hi_u32 v8, v5, v8
	v_add_u32_e32 v5, v5, v8
	v_mul_hi_u32 v5, v6, v5
	v_mul_lo_u32 v8, v5, s24
	v_sub_u32_e32 v8, v6, v8
	v_add_u32_e32 v9, 1, v5
	v_subrev_u32_e32 v10, s24, v8
	v_cmp_le_u32_e32 vcc, s24, v8
	s_nop 1
	v_cndmask_b32_e32 v8, v8, v10, vcc
	v_cndmask_b32_e32 v5, v5, v9, vcc
	v_add_u32_e32 v9, 1, v5
	v_cmp_le_u32_e32 vcc, s24, v8
	s_nop 1
	v_cndmask_b32_e32 v30, v5, v9, vcc
.LBB0_6:                                ;   in Loop: Header=BB0_2 Depth=1
	s_or_b64 exec, exec, s[2:3]
	v_mad_u64_u32 v[8:9], s[2:3], v30, s24, 0
	s_load_dwordx2 s[2:3], s[18:19], 0x0
	v_mul_lo_u32 v5, v31, s24
	v_mul_lo_u32 v10, v30, s25
	s_load_dwordx2 s[24:25], s[16:17], 0x0
	s_add_u32 s22, s22, 1
	v_add3_u32 v5, v9, v10, v5
	v_sub_co_u32_e32 v6, vcc, v6, v8
	s_addc_u32 s23, s23, 0
	s_nop 0
	v_subb_co_u32_e32 v5, vcc, v7, v5, vcc
	s_add_u32 s16, s16, 8
	s_waitcnt lgkmcnt(0)
	v_mul_lo_u32 v7, s2, v5
	v_mul_lo_u32 v8, s3, v6
	v_mad_u64_u32 v[2:3], s[2:3], s2, v6, v[2:3]
	s_addc_u32 s17, s17, 0
	v_add3_u32 v3, v8, v3, v7
	v_mul_lo_u32 v5, s24, v5
	v_mul_lo_u32 v7, s25, v6
	v_mad_u64_u32 v[28:29], s[2:3], s24, v6, v[28:29]
	s_add_u32 s18, s18, 8
	v_add3_u32 v29, v7, v29, v5
	s_addc_u32 s19, s19, 0
	v_mov_b64_e32 v[6:7], s[10:11]
	s_add_u32 s20, s20, 8
	v_cmp_ge_u64_e32 vcc, s[22:23], v[6:7]
	s_addc_u32 s21, s21, 0
	s_cbranch_vccnz .LBB0_9
; %bb.7:                                ;   in Loop: Header=BB0_2 Depth=1
	v_mov_b64_e32 v[6:7], v[30:31]
	s_branch .LBB0_2
.LBB0_8:
	v_mov_b64_e32 v[28:29], v[2:3]
	v_mov_b64_e32 v[30:31], v[6:7]
.LBB0_9:
	s_load_dwordx2 s[0:1], s[0:1], 0x28
	s_lshl_b64 s[16:17], s[10:11], 3
	s_add_u32 s10, s14, s16
	s_addc_u32 s11, s15, s17
	v_and_b32_e32 v32, 7, v0
	s_waitcnt lgkmcnt(0)
	v_cmp_gt_u64_e32 vcc, s[0:1], v[30:31]
	v_cmp_le_u64_e64 s[0:1], s[0:1], v[30:31]
	s_and_saveexec_b64 s[2:3], s[0:1]
	s_xor_b64 s[0:1], exec, s[2:3]
; %bb.10:
	v_and_b32_e32 v32, 7, v0
                                        ; implicit-def: $vgpr2_vgpr3
; %bb.11:
	s_or_saveexec_b64 s[2:3], s[0:1]
	s_load_dwordx2 s[10:11], s[10:11], 0x0
	v_mul_u32_u24_e32 v5, 0x69, v1
	v_lshlrev_b32_e32 v4, 3, v5
	s_xor_b64 exec, exec, s[2:3]
	s_cbranch_execz .LBB0_15
; %bb.12:
	s_add_u32 s0, s12, s16
	s_addc_u32 s1, s13, s17
	s_load_dwordx2 s[0:1], s[0:1], 0x0
	v_lshlrev_b32_e32 v6, 3, v32
	s_waitcnt lgkmcnt(0)
	v_mul_lo_u32 v7, s1, v30
	v_mul_lo_u32 v8, s0, v31
	v_mad_u64_u32 v[0:1], s[0:1], s0, v30, 0
	v_add3_u32 v1, v1, v8, v7
	v_lshl_add_u64 v[0:1], v[0:1], 3, s[4:5]
	v_lshl_add_u64 v[0:1], v[2:3], 3, v[0:1]
	v_mov_b32_e32 v7, 0
	v_lshl_add_u64 v[2:3], v[0:1], 0, v[6:7]
	global_load_dwordx2 v[8:9], v[2:3], off
	global_load_dwordx2 v[10:11], v[2:3], off offset:64
	global_load_dwordx2 v[12:13], v[2:3], off offset:128
	;; [unrolled: 1-line block ×12, first 2 shown]
	v_add3_u32 v2, 0, v4, v6
	v_cmp_eq_u32_e64 s[0:1], 7, v32
	s_waitcnt vmcnt(11)
	ds_write2_b64 v2, v[8:9], v[10:11] offset1:8
	s_waitcnt vmcnt(9)
	ds_write2_b64 v2, v[12:13], v[14:15] offset0:16 offset1:24
	s_waitcnt vmcnt(7)
	ds_write2_b64 v2, v[16:17], v[18:19] offset0:32 offset1:40
	;; [unrolled: 2-line block ×5, first 2 shown]
	s_waitcnt vmcnt(0)
	ds_write_b64 v2, v[38:39] offset:768
	s_and_saveexec_b64 s[4:5], s[0:1]
	s_cbranch_execz .LBB0_14
; %bb.13:
	global_load_dwordx2 v[0:1], v[0:1], off offset:832
	v_mov_b32_e32 v32, 7
	s_waitcnt vmcnt(0)
	ds_write_b64 v2, v[0:1] offset:776
.LBB0_14:
	s_or_b64 exec, exec, s[4:5]
.LBB0_15:
	s_or_b64 exec, exec, s[2:3]
	v_lshl_add_u32 v54, v5, 3, 0
	v_lshlrev_b32_e32 v5, 3, v32
	v_add_u32_e32 v55, v54, v5
	s_waitcnt lgkmcnt(0)
	; wave barrier
	s_waitcnt lgkmcnt(0)
	v_sub_u32_e32 v6, v54, v5
	ds_read_b32 v0, v55
	ds_read_b32 v1, v6 offset:832
	v_cmp_ne_u32_e64 s[0:1], 0, v32
	s_waitcnt lgkmcnt(0)
	v_add_f32_e32 v2, v1, v0
	v_sub_f32_e32 v3, v0, v1
                                        ; implicit-def: $vgpr0_vgpr1
	s_and_saveexec_b64 s[2:3], s[0:1]
	s_xor_b64 s[0:1], exec, s[2:3]
	s_cbranch_execz .LBB0_17
; %bb.16:
	v_mov_b32_e32 v33, 0
	v_lshl_add_u64 v[0:1], v[32:33], 3, s[8:9]
	global_load_dwordx2 v[8:9], v[0:1], off offset:728
	ds_read_b32 v7, v6 offset:836
	ds_read_b32 v13, v55 offset:4
	v_mov_b32_e32 v10, v3
	v_mov_b32_e32 v12, v2
	;; [unrolled: 1-line block ×3, first 2 shown]
	v_mov_b64_e32 v[0:1], v[32:33]
	s_waitcnt lgkmcnt(0)
	v_add_f32_e32 v11, v7, v13
	v_sub_f32_e32 v13, v13, v7
	v_mov_b32_e32 v14, v11
	s_waitcnt vmcnt(0)
	v_pk_mul_f32 v[16:17], v[10:11], v[8:9] op_sel:[0,1]
	v_pk_fma_f32 v[10:11], v[10:11], v[8:9], v[12:13] op_sel:[0,1,0]
	v_mov_b32_e32 v3, v17
	v_mov_b32_e32 v17, v13
	v_pk_fma_f32 v[18:19], v[8:9], v[14:15], v[10:11] neg_lo:[1,0,0] neg_hi:[1,0,0]
	v_pk_fma_f32 v[10:11], v[8:9], v[14:15], v[10:11] op_sel_hi:[0,1,1]
	v_pk_add_f32 v[2:3], v[2:3], v[16:17] neg_lo:[0,1] neg_hi:[0,1]
	v_mov_b32_e32 v19, v11
	v_pk_fma_f32 v[2:3], v[8:9], v[14:15], v[2:3] op_sel_hi:[0,1,1]
	ds_write_b64 v6, v[2:3] offset:832
	v_mov_b64_e32 v[2:3], v[18:19]
.LBB0_17:
	s_andn2_saveexec_b64 s[0:1], s[0:1]
	s_cbranch_execz .LBB0_19
; %bb.18:
	ds_read_b64 v[0:1], v54 offset:416
	s_mov_b32 s2, 2.0
	s_mov_b32 s3, -2.0
	s_waitcnt lgkmcnt(0)
	v_pk_mul_f32 v[0:1], v[0:1], s[2:3]
	ds_write_b64 v54, v[0:1] offset:416
	v_mov_b64_e32 v[0:1], 0
.LBB0_19:
	s_or_b64 exec, exec, s[0:1]
	s_add_u32 s0, s8, 0x2d8
	s_addc_u32 s1, s9, 0
	v_lshl_add_u64 v[0:1], v[0:1], 3, s[0:1]
	global_load_dwordx2 v[8:9], v[0:1], off offset:64
	global_load_dwordx2 v[10:11], v[0:1], off offset:128
	;; [unrolled: 1-line block ×4, first 2 shown]
	ds_write_b64 v55, v[2:3]
	ds_read_b64 v[2:3], v6 offset:768
	ds_read_b64 v[16:17], v55 offset:64
	global_load_dwordx2 v[18:19], v[0:1], off offset:320
	v_or_b32_e32 v7, 48, v32
	v_cmp_gt_u32_e64 s[0:1], 52, v7
	s_waitcnt lgkmcnt(0)
	v_pk_add_f32 v[20:21], v[16:17], v[2:3]
	v_pk_add_f32 v[2:3], v[16:17], v[2:3] neg_lo:[0,1] neg_hi:[0,1]
	v_mov_b32_e32 v16, v21
	v_mov_b32_e32 v17, v2
	v_mov_b32_e32 v21, v3
	s_waitcnt vmcnt(4)
	v_pk_mul_f32 v[22:23], v[16:17], v[8:9] op_sel:[0,1]
	s_nop 0
	v_pk_add_f32 v[24:25], v[20:21], v[22:23] op_sel:[0,1] op_sel_hi:[1,0]
	v_mov_b32_e32 v21, v22
	v_mov_b32_e32 v2, v23
	v_pk_fma_f32 v[22:23], v[8:9], v[16:17], v[24:25] neg_lo:[1,0,0] neg_hi:[1,0,0]
	v_pk_fma_f32 v[24:25], v[8:9], v[16:17], v[24:25] op_sel_hi:[0,1,1]
	v_pk_add_f32 v[2:3], v[20:21], v[2:3] neg_lo:[0,1] neg_hi:[0,1]
	v_mov_b32_e32 v23, v25
	v_pk_fma_f32 v[2:3], v[8:9], v[16:17], v[2:3] op_sel_hi:[0,1,1]
	ds_write_b64 v55, v[22:23] offset:64
	ds_write_b64 v6, v[2:3] offset:768
	ds_read_b64 v[2:3], v6 offset:704
	ds_read_b64 v[8:9], v55 offset:128
	s_waitcnt lgkmcnt(0)
	v_pk_add_f32 v[16:17], v[8:9], v[2:3]
	v_pk_add_f32 v[2:3], v[8:9], v[2:3] neg_lo:[0,1] neg_hi:[0,1]
	v_mov_b32_e32 v8, v17
	v_mov_b32_e32 v9, v2
	v_mov_b32_e32 v17, v3
	s_waitcnt vmcnt(3)
	v_pk_mul_f32 v[20:21], v[8:9], v[10:11] op_sel:[0,1]
	s_nop 0
	v_pk_add_f32 v[22:23], v[16:17], v[20:21] op_sel:[0,1] op_sel_hi:[1,0]
	v_mov_b32_e32 v17, v20
	v_mov_b32_e32 v2, v21
	v_pk_fma_f32 v[20:21], v[10:11], v[8:9], v[22:23] neg_lo:[1,0,0] neg_hi:[1,0,0]
	v_pk_fma_f32 v[22:23], v[10:11], v[8:9], v[22:23] op_sel_hi:[0,1,1]
	v_pk_add_f32 v[2:3], v[16:17], v[2:3] neg_lo:[0,1] neg_hi:[0,1]
	v_mov_b32_e32 v21, v23
	v_pk_fma_f32 v[2:3], v[10:11], v[8:9], v[2:3] op_sel_hi:[0,1,1]
	ds_write_b64 v55, v[20:21] offset:128
	ds_write_b64 v6, v[2:3] offset:704
	ds_read_b64 v[2:3], v6 offset:640
	ds_read_b64 v[8:9], v55 offset:192
	;; [unrolled: 21-line block ×4, first 2 shown]
	s_waitcnt lgkmcnt(0)
	v_pk_add_f32 v[10:11], v[8:9], v[2:3]
	v_pk_add_f32 v[2:3], v[8:9], v[2:3] neg_lo:[0,1] neg_hi:[0,1]
	v_mov_b32_e32 v8, v11
	v_mov_b32_e32 v9, v2
	;; [unrolled: 1-line block ×3, first 2 shown]
	s_waitcnt vmcnt(0)
	v_pk_mul_f32 v[12:13], v[8:9], v[18:19] op_sel:[0,1]
	s_nop 0
	v_pk_add_f32 v[14:15], v[10:11], v[12:13] op_sel:[0,1] op_sel_hi:[1,0]
	v_mov_b32_e32 v11, v12
	v_mov_b32_e32 v2, v13
	v_pk_fma_f32 v[12:13], v[18:19], v[8:9], v[14:15] neg_lo:[1,0,0] neg_hi:[1,0,0]
	v_pk_fma_f32 v[14:15], v[18:19], v[8:9], v[14:15] op_sel_hi:[0,1,1]
	v_pk_add_f32 v[2:3], v[10:11], v[2:3] neg_lo:[0,1] neg_hi:[0,1]
	v_mov_b32_e32 v13, v15
	v_pk_fma_f32 v[2:3], v[18:19], v[8:9], v[2:3] op_sel_hi:[0,1,1]
	ds_write_b64 v55, v[12:13] offset:320
	ds_write_b64 v6, v[2:3] offset:512
	s_and_saveexec_b64 s[2:3], s[0:1]
	s_cbranch_execz .LBB0_21
; %bb.20:
	global_load_dwordx2 v[0:1], v[0:1], off offset:384
	ds_read_b64 v[2:3], v6 offset:448
	ds_read_b64 v[8:9], v55 offset:384
	s_waitcnt lgkmcnt(0)
	v_pk_add_f32 v[10:11], v[8:9], v[2:3]
	v_pk_add_f32 v[2:3], v[8:9], v[2:3] neg_lo:[0,1] neg_hi:[0,1]
	v_mov_b32_e32 v8, v11
	v_mov_b32_e32 v9, v2
	v_mov_b32_e32 v11, v3
	s_waitcnt vmcnt(0)
	v_pk_mul_f32 v[12:13], v[8:9], v[0:1] op_sel:[0,1]
	s_nop 0
	v_pk_add_f32 v[14:15], v[10:11], v[12:13] op_sel:[0,1] op_sel_hi:[1,0]
	v_mov_b32_e32 v11, v12
	v_mov_b32_e32 v2, v13
	v_pk_fma_f32 v[12:13], v[0:1], v[8:9], v[14:15] neg_lo:[1,0,0] neg_hi:[1,0,0]
	v_pk_fma_f32 v[14:15], v[0:1], v[8:9], v[14:15] op_sel_hi:[0,1,1]
	v_pk_add_f32 v[2:3], v[10:11], v[2:3] neg_lo:[0,1] neg_hi:[0,1]
	v_mov_b32_e32 v13, v15
	v_pk_fma_f32 v[0:1], v[0:1], v[8:9], v[2:3] op_sel_hi:[0,1,1]
	ds_write_b64 v55, v[12:13] offset:384
	ds_write_b64 v6, v[0:1] offset:448
.LBB0_21:
	s_or_b64 exec, exec, s[2:3]
	s_waitcnt lgkmcnt(0)
	; wave barrier
	s_waitcnt lgkmcnt(0)
	s_waitcnt lgkmcnt(0)
	; wave barrier
	s_waitcnt lgkmcnt(0)
	v_add3_u32 v33, 0, v5, v4
	ds_read_b64 v[6:7], v55
	ds_read2_b64 v[0:3], v33 offset0:8 offset1:16
	ds_read2_b64 v[24:27], v33 offset0:24 offset1:32
	;; [unrolled: 1-line block ×6, first 2 shown]
	s_mov_b32 s14, 0xbf7e222b
	s_waitcnt lgkmcnt(3)
	v_pk_add_f32 v[8:9], v[0:1], v[50:51] neg_lo:[0,1] neg_hi:[0,1]
	v_pk_add_f32 v[20:21], v[6:7], v[0:1]
	v_pk_add_f32 v[4:5], v[50:51], v[0:1]
	s_mov_b32 s0, 0x3df6dbef
	v_pk_mul_f32 v[0:1], v[8:9], s[14:15] op_sel_hi:[1,0]
	v_pk_add_f32 v[12:13], v[2:3], v[48:49] neg_lo:[0,1] neg_hi:[0,1]
	s_mov_b32 s12, 0xbe750f2a
	v_pk_fma_f32 v[36:37], v[4:5], s[0:1], v[0:1] op_sel:[0,0,1] op_sel_hi:[1,0,0] neg_lo:[0,0,1] neg_hi:[0,0,1]
	v_pk_fma_f32 v[38:39], v[4:5], s[0:1], v[0:1] op_sel:[0,0,1] op_sel_hi:[1,0,0]
	v_pk_add_f32 v[10:11], v[48:49], v[2:3]
	s_mov_b32 s4, 0xbf788fa5
	v_pk_mul_f32 v[14:15], v[12:13], s[12:13] op_sel_hi:[1,0]
	v_mov_b32_e32 v0, v38
	v_mov_b32_e32 v1, v37
	s_mov_b32 s2, 0xbf6f5d39
	v_pk_fma_f32 v[40:41], v[10:11], s[4:5], v[14:15] op_sel:[0,0,1] op_sel_hi:[1,0,0] neg_lo:[0,0,1] neg_hi:[0,0,1]
	v_pk_fma_f32 v[42:43], v[10:11], s[4:5], v[14:15] op_sel:[0,0,1] op_sel_hi:[1,0,0]
	v_pk_add_f32 v[0:1], v[6:7], v[0:1]
	s_mov_b32 s3, 0xbeb58ec6
	v_mov_b32_e32 v14, v42
	v_mov_b32_e32 v15, v41
	s_waitcnt lgkmcnt(0)
	v_pk_add_f32 v[16:17], v[24:25], v[66:67] neg_lo:[0,1] neg_hi:[0,1]
	s_mov_b32 s18, 0x3f6f5d39
	v_pk_add_f32 v[0:1], v[14:15], v[0:1]
	v_pk_add_f32 v[14:15], v[66:67], v[24:25]
	s_mov_b32 s16, s3
	v_pk_mul_f32 v[18:19], v[16:17], s[18:19] op_sel_hi:[1,0]
	v_pk_add_f32 v[2:3], v[20:21], v[2:3]
	v_pk_fma_f32 v[44:45], v[14:15], s[16:17], v[18:19] op_sel:[0,0,1] op_sel_hi:[1,0,0] neg_lo:[0,0,1] neg_hi:[0,0,1]
	v_pk_fma_f32 v[46:47], v[14:15], s[16:17], v[18:19] op_sel:[0,0,1] op_sel_hi:[1,0,0]
	s_mov_b32 s18, 0x3eedf032
	v_pk_add_f32 v[2:3], v[2:3], v[24:25]
	v_mov_b32_e32 v18, v46
	v_mov_b32_e32 v19, v45
	s_mov_b32 s19, 0x3f62ad3f
	v_pk_add_f32 v[34:35], v[26:27], v[64:65] neg_lo:[0,1] neg_hi:[0,1]
	v_pk_add_f32 v[2:3], v[2:3], v[26:27]
	v_pk_add_f32 v[0:1], v[18:19], v[0:1]
	;; [unrolled: 1-line block ×3, first 2 shown]
	s_mov_b32 s20, s19
	v_pk_add_f32 v[2:3], v[2:3], v[56:57]
	v_pk_mul_f32 v[52:53], v[34:35], s[18:19] op_sel_hi:[1,0]
	v_pk_add_f32 v[22:23], v[62:63], v[56:57]
	v_pk_add_f32 v[26:27], v[56:57], v[62:63] neg_lo:[0,1] neg_hi:[0,1]
	v_pk_add_f32 v[20:21], v[60:61], v[58:59]
	v_pk_add_f32 v[2:3], v[2:3], v[58:59]
	v_pk_add_f32 v[24:25], v[58:59], v[60:61] neg_lo:[0,1] neg_hi:[0,1]
	v_pk_fma_f32 v[56:57], v[18:19], s[20:21], v[52:53] op_sel:[0,0,1] op_sel_hi:[1,0,0] neg_lo:[0,0,1] neg_hi:[0,0,1]
	v_pk_fma_f32 v[58:59], v[18:19], s[20:21], v[52:53] op_sel:[0,0,1] op_sel_hi:[1,0,0]
	v_mov_b32_e32 v53, v57
	v_mov_b32_e32 v52, v58
	s_mov_b32 s22, 0x3f116cb1
	s_mov_b32 s30, 0xbf52af12
	v_pk_add_f32 v[2:3], v[2:3], v[60:61]
	v_pk_add_f32 v[0:1], v[52:53], v[0:1]
	s_mov_b32 s23, 0x3f52af12
	v_pk_mul_f32 v[52:53], v[26:27], s[30:31] op_sel_hi:[1,0]
	v_pk_add_f32 v[2:3], v[2:3], v[62:63]
	v_pk_fma_f32 v[60:61], v[22:23], s[22:23], v[52:53] op_sel:[0,0,1] op_sel_hi:[1,0,0] neg_lo:[0,0,1] neg_hi:[0,0,1]
	v_pk_fma_f32 v[62:63], v[22:23], s[22:23], v[52:53] op_sel:[0,0,1] op_sel_hi:[1,0,0]
	v_pk_add_f32 v[2:3], v[2:3], v[64:65]
	v_mov_b32_e32 v52, v62
	v_mov_b32_e32 v53, v61
	v_pk_add_f32 v[2:3], v[2:3], v[66:67]
	v_pk_add_f32 v[0:1], v[52:53], v[0:1]
	v_pk_mul_f32 v[52:53], v[8:9], s[30:31] op_sel_hi:[1,0]
	v_pk_add_f32 v[2:3], v[2:3], v[48:49]
	v_pk_fma_f32 v[66:67], v[4:5], s[22:23], v[52:53] op_sel:[0,0,1] op_sel_hi:[1,0,0] neg_lo:[0,0,1] neg_hi:[0,0,1]
	v_pk_fma_f32 v[68:69], v[4:5], s[22:23], v[52:53] op_sel:[0,0,1] op_sel_hi:[1,0,0]
	v_pk_mul_f32 v[48:49], v[12:13], s[2:3] op_sel_hi:[1,0]
	v_pk_add_f32 v[64:65], v[2:3], v[50:51]
	v_mov_b32_e32 v2, v68
	v_mov_b32_e32 v3, v67
	v_pk_fma_f32 v[70:71], v[10:11], s[16:17], v[48:49] op_sel:[0,0,1] op_sel_hi:[1,0,0] neg_lo:[0,0,1] neg_hi:[0,0,1]
	v_pk_fma_f32 v[72:73], v[10:11], s[16:17], v[48:49] op_sel:[0,0,1] op_sel_hi:[1,0,0]
	v_pk_add_f32 v[2:3], v[6:7], v[2:3]
	v_mov_b32_e32 v48, v72
	v_mov_b32_e32 v49, v71
	v_pk_add_f32 v[2:3], v[48:49], v[2:3]
	v_pk_mul_f32 v[48:49], v[16:17], s[12:13] op_sel_hi:[1,0]
	s_mov_b32 s26, 0xbf3f9e67
	v_pk_fma_f32 v[74:75], v[14:15], s[4:5], v[48:49] op_sel:[0,0,1] op_sel_hi:[1,0,0] neg_lo:[0,0,1] neg_hi:[0,0,1]
	v_pk_fma_f32 v[76:77], v[14:15], s[4:5], v[48:49] op_sel:[0,0,1] op_sel_hi:[1,0,0]
	s_mov_b32 s27, 0x3f29c268
	v_mov_b32_e32 v48, v76
	v_mov_b32_e32 v49, v75
	s_mov_b32 s24, s27
	v_pk_add_f32 v[2:3], v[48:49], v[2:3]
	v_pk_mul_f32 v[48:49], v[34:35], s[24:25] op_sel_hi:[1,0]
	s_mov_b32 s24, 0x3f7e222b
	v_pk_fma_f32 v[78:79], v[18:19], s[26:27], v[48:49] op_sel:[0,0,1] op_sel_hi:[1,0,0] neg_lo:[0,0,1] neg_hi:[0,0,1]
	v_pk_fma_f32 v[80:81], v[18:19], s[26:27], v[48:49] op_sel:[0,0,1] op_sel_hi:[1,0,0]
	v_mov_b32_e32 v49, v79
	v_mov_b32_e32 v48, v80
	v_pk_add_f32 v[2:3], v[48:49], v[2:3]
	s_mov_b32 s1, s19
	v_pk_mul_f32 v[48:49], v[26:27], s[24:25] op_sel_hi:[1,0]
	s_mov_b32 s28, 0xbf29c268
	v_pk_fma_f32 v[82:83], v[22:23], s[0:1], v[48:49] op_sel:[0,0,1] op_sel_hi:[1,0,0] neg_lo:[0,0,1] neg_hi:[0,0,1]
	v_pk_fma_f32 v[84:85], v[22:23], s[0:1], v[48:49] op_sel:[0,0,1] op_sel_hi:[1,0,0]
	v_mov_b32_e32 v49, v83
	v_mov_b32_e32 v48, v84
	v_pk_add_f32 v[2:3], v[48:49], v[2:3]
	v_pk_mul_f32 v[48:49], v[24:25], s[18:19] op_sel_hi:[1,0]
	s_mov_b32 s34, 0xbeedf032
	v_pk_fma_f32 v[86:87], v[20:21], s[20:21], v[48:49] op_sel:[0,0,1] op_sel_hi:[1,0,0] neg_lo:[0,0,1] neg_hi:[0,0,1]
	v_pk_fma_f32 v[88:89], v[20:21], s[20:21], v[48:49] op_sel:[0,0,1] op_sel_hi:[1,0,0]
	v_mov_b32_e32 v49, v87
	v_mov_b32_e32 v48, v88
	v_pk_add_f32 v[2:3], v[48:49], v[2:3]
	v_pk_mul_f32 v[48:49], v[24:25], s[28:29] op_sel_hi:[1,0]
	v_pk_mul_f32 v[50:51], v[12:13], s[30:31] op_sel_hi:[1,0]
	v_pk_fma_f32 v[90:91], v[20:21], s[26:27], v[48:49] op_sel:[0,0,1] op_sel_hi:[1,0,0] neg_lo:[0,0,1] neg_hi:[0,0,1]
	v_pk_fma_f32 v[92:93], v[20:21], s[26:27], v[48:49] op_sel:[0,0,1] op_sel_hi:[1,0,0]
	v_mov_b32_e32 v49, v91
	v_mov_b32_e32 v48, v92
	v_pk_add_f32 v[0:1], v[48:49], v[0:1]
	v_pk_mul_f32 v[48:49], v[8:9], s[34:35] op_sel_hi:[1,0]
	v_pk_fma_f32 v[96:97], v[10:11], s[22:23], v[50:51] op_sel:[0,0,1] op_sel_hi:[1,0,0] neg_lo:[0,0,1] neg_hi:[0,0,1]
	v_pk_fma_f32 v[94:95], v[4:5], s[20:21], v[48:49] op_sel:[0,0,1] op_sel_hi:[1,0,0] neg_lo:[0,0,1] neg_hi:[0,0,1]
	v_pk_fma_f32 v[48:49], v[4:5], s[20:21], v[48:49] op_sel:[0,0,1] op_sel_hi:[1,0,0]
	v_pk_fma_f32 v[50:51], v[10:11], s[22:23], v[50:51] op_sel:[0,0,1] op_sel_hi:[1,0,0]
	v_mov_b32_e32 v53, v95
	v_mov_b32_e32 v95, v49
	v_pk_add_f32 v[94:95], v[6:7], v[94:95]
	v_mov_b32_e32 v99, v97
	v_mov_b32_e32 v97, v51
	s_mov_b32 s15, s0
	v_pk_add_f32 v[94:95], v[96:97], v[94:95]
	v_pk_mul_f32 v[96:97], v[16:17], s[14:15] op_sel_hi:[1,0]
	v_mov_b32_e32 v67, v69
	v_pk_fma_f32 v[100:101], v[14:15], s[0:1], v[96:97] op_sel:[0,0,1] op_sel_hi:[1,0,0] neg_lo:[0,0,1] neg_hi:[0,0,1]
	v_pk_fma_f32 v[96:97], v[14:15], s[0:1], v[96:97] op_sel:[0,0,1] op_sel_hi:[1,0,0]
	v_mov_b32_e32 v51, v101
	v_mov_b32_e32 v101, v97
	v_pk_add_f32 v[94:95], v[100:101], v[94:95]
	v_pk_mul_f32 v[100:101], v[34:35], s[2:3] op_sel_hi:[1,0]
	v_mov_b32_e32 v37, v39
	v_pk_fma_f32 v[102:103], v[18:19], s[16:17], v[100:101] op_sel:[0,0,1] op_sel_hi:[1,0,0] neg_lo:[0,0,1] neg_hi:[0,0,1]
	v_pk_fma_f32 v[100:101], v[18:19], s[16:17], v[100:101] op_sel:[0,0,1] op_sel_hi:[1,0,0]
	v_mov_b32_e32 v97, v103
	v_mov_b32_e32 v103, v101
	v_pk_add_f32 v[94:95], v[102:103], v[94:95]
	v_pk_mul_f32 v[102:103], v[26:27], s[28:29] op_sel_hi:[1,0]
	s_nop 0
	v_pk_fma_f32 v[104:105], v[22:23], s[26:27], v[102:103] op_sel:[0,0,1] op_sel_hi:[1,0,0] neg_lo:[0,0,1] neg_hi:[0,0,1]
	v_pk_fma_f32 v[102:103], v[22:23], s[26:27], v[102:103] op_sel:[0,0,1] op_sel_hi:[1,0,0]
	v_mov_b32_e32 v101, v105
	v_mov_b32_e32 v105, v103
	v_pk_add_f32 v[94:95], v[104:105], v[94:95]
	v_pk_mul_f32 v[104:105], v[24:25], s[12:13] op_sel_hi:[1,0]
	; wave barrier
	s_nop 0
	v_pk_fma_f32 v[106:107], v[20:21], s[4:5], v[104:105] op_sel:[0,0,1] op_sel_hi:[1,0,0] neg_lo:[0,0,1] neg_hi:[0,0,1]
	v_pk_fma_f32 v[104:105], v[20:21], s[4:5], v[104:105] op_sel:[0,0,1] op_sel_hi:[1,0,0]
	v_mov_b32_e32 v49, v107
	v_mov_b32_e32 v107, v105
	s_movk_i32 s5, 0x60
	v_pk_add_f32 v[94:95], v[106:107], v[94:95]
	v_mad_u32_u24 v103, v32, s5, v33
	ds_write2_b64 v103, v[64:65], v[94:95] offset1:1
	v_mov_b32_e32 v71, v73
	v_pk_add_f32 v[64:65], v[6:7], v[66:67]
	v_mov_b32_e32 v41, v43
	v_pk_add_f32 v[36:37], v[6:7], v[36:37]
	v_pk_add_f32 v[64:65], v[70:71], v[64:65]
	v_mov_b32_e32 v75, v77
	v_pk_add_f32 v[36:37], v[40:41], v[36:37]
	v_mov_b32_e32 v45, v47
	;; [unrolled: 2-line block ×8, first 2 shown]
	v_pk_add_f32 v[64:65], v[86:87], v[64:65]
	v_pk_add_f32 v[36:37], v[90:91], v[36:37]
	v_mov_b32_e32 v40, v13
	v_mov_b32_e32 v41, v9
	s_mov_b32 s36, s27
	s_mov_b32 s37, s2
	ds_write2_b64 v103, v[64:65], v[36:37] offset0:2 offset1:3
	v_mov_b32_e32 v36, v11
	v_mov_b32_e32 v37, v12
	;; [unrolled: 1-line block ×4, first 2 shown]
	s_mov_b32 s34, s26
	s_mov_b32 s35, s3
	v_pk_mul_f32 v[40:41], v[40:41], s[36:37]
	v_pk_mul_f32 v[42:43], v[36:37], s[26:27]
	v_pk_fma_f32 v[46:47], v[38:39], s[34:35], v[40:41] neg_lo:[0,0,1] neg_hi:[0,0,1]
	v_mov_b32_e32 v44, v6
	v_mov_b32_e32 v45, v43
	;; [unrolled: 1-line block ×4, first 2 shown]
	v_pk_add_f32 v[44:45], v[44:45], v[56:57]
	v_mov_b32_e32 v56, v8
	v_mov_b32_e32 v57, v5
	v_pk_mul_f32 v[58:59], v[56:57], s[2:3]
	v_mov_b32_e32 v62, v35
	v_mov_b32_e32 v52, v59
	v_pk_fma_f32 v[60:61], v[56:57], s[2:3], v[52:53]
	v_mov_b32_e32 v63, v17
	v_mov_b32_e32 v43, v60
	v_pk_add_f32 v[60:61], v[6:7], v[42:43]
	s_mov_b32 s36, s14
	v_mov_b32_e32 v47, v61
	v_pk_mul_f32 v[60:61], v[16:17], s[18:19]
	s_mov_b32 s37, s18
	v_pk_add_f32 v[44:45], v[46:47], v[44:45]
	v_mov_b32_e32 v46, v16
	v_mov_b32_e32 v47, v15
	;; [unrolled: 1-line block ×5, first 2 shown]
	v_pk_mul_f32 v[62:63], v[62:63], s[36:37]
	v_pk_fma_f32 v[64:65], v[46:47], s[18:19], v[42:43]
	v_pk_fma_f32 v[66:67], v[60:61], s[0:1], v[62:63] neg_lo:[0,0,1] neg_hi:[0,0,1]
	v_pk_mul_f32 v[68:69], v[34:35], s[14:15]
	v_mov_b32_e32 v64, v67
	v_pk_add_f32 v[44:45], v[64:65], v[44:45]
	v_mov_b32_e32 v64, v34
	v_mov_b32_e32 v65, v19
	;; [unrolled: 1-line block ×3, first 2 shown]
	v_pk_fma_f32 v[68:69], v[64:65], s[14:15], v[58:59]
	s_mov_b32 s36, 0x3e750f2a
	s_mov_b32 s37, s4
	v_mov_b32_e32 v67, v69
	v_pk_mul_f32 v[68:69], v[26:27], s[36:37]
	v_mov_b32_e32 v72, v25
	v_mov_b32_e32 v73, v27
	s_mov_b32 s40, s23
	s_mov_b32 s41, s36
	v_pk_add_f32 v[44:45], v[66:67], v[44:45]
	v_mov_b32_e32 v66, v26
	v_mov_b32_e32 v67, v23
	;; [unrolled: 1-line block ×5, first 2 shown]
	s_mov_b32 s38, s22
	s_mov_b32 s39, s4
	v_pk_mul_f32 v[72:73], v[72:73], s[40:41]
	v_pk_fma_f32 v[74:75], v[66:67], s[36:37], v[68:69]
	v_pk_fma_f32 v[76:77], v[70:71], s[38:39], v[72:73] neg_lo:[0,0,1] neg_hi:[0,0,1]
	v_pk_fma_f32 v[70:71], v[70:71], s[38:39], v[72:73]
	v_mov_b32_e32 v74, v77
	v_pk_add_f32 v[44:45], v[74:75], v[44:45]
	v_mov_b32_e32 v74, v21
	v_mov_b32_e32 v75, v24
	v_pk_mul_f32 v[78:79], v[74:75], s[22:23]
	v_pk_mul_f32 v[82:83], v[12:13], s[24:25] op_sel_hi:[1,0]
	v_mov_b32_e32 v73, v78
	v_pk_fma_f32 v[72:73], v[74:75], s[22:23], v[72:73]
	v_pk_fma_f32 v[84:85], v[10:11], s[0:1], v[82:83] op_sel:[0,0,1] op_sel_hi:[1,0,0] neg_lo:[0,0,1] neg_hi:[0,0,1]
	v_mov_b32_e32 v77, v73
	v_pk_mul_f32 v[72:73], v[8:9], s[28:29] op_sel_hi:[1,0]
	v_pk_add_f32 v[44:45], v[76:77], v[44:45]
	v_pk_fma_f32 v[76:77], v[4:5], s[26:27], v[72:73] op_sel:[0,0,1] op_sel_hi:[1,0,0] neg_lo:[0,0,1] neg_hi:[0,0,1]
	v_pk_fma_f32 v[72:73], v[4:5], s[26:27], v[72:73] op_sel:[0,0,1] op_sel_hi:[1,0,0]
	v_mov_b32_e32 v80, v76
	v_mov_b32_e32 v81, v73
	v_pk_fma_f32 v[82:83], v[10:11], s[0:1], v[82:83] op_sel:[0,0,1] op_sel_hi:[1,0,0]
	v_pk_add_f32 v[80:81], v[6:7], v[80:81]
	v_mov_b32_e32 v86, v84
	v_mov_b32_e32 v87, v83
	v_pk_add_f32 v[80:81], v[86:87], v[80:81]
	v_pk_mul_f32 v[86:87], v[16:17], s[30:31] op_sel_hi:[1,0]
	v_pk_fma_f32 v[38:39], v[38:39], s[34:35], v[40:41]
	v_pk_fma_f32 v[88:89], v[14:15], s[22:23], v[86:87] op_sel:[0,0,1] op_sel_hi:[1,0,0] neg_lo:[0,0,1] neg_hi:[0,0,1]
	v_pk_fma_f32 v[86:87], v[14:15], s[22:23], v[86:87] op_sel:[0,0,1] op_sel_hi:[1,0,0]
	v_mov_b32_e32 v90, v88
	v_mov_b32_e32 v91, v87
	v_pk_add_f32 v[80:81], v[90:91], v[80:81]
	v_pk_mul_f32 v[90:91], v[34:35], s[36:37] op_sel_hi:[1,0]
	v_mov_b32_e32 v41, v42
	v_pk_fma_f32 v[92:93], v[18:19], s[4:5], v[90:91] op_sel:[0,0,1] op_sel_hi:[1,0,0] neg_lo:[0,0,1] neg_hi:[0,0,1]
	v_pk_fma_f32 v[90:91], v[18:19], s[4:5], v[90:91] op_sel:[0,0,1] op_sel_hi:[1,0,0]
	v_mov_b32_e32 v94, v92
	v_mov_b32_e32 v95, v91
	v_pk_mul_f32 v[8:9], v[8:9], s[12:13] op_sel_hi:[1,0]
	v_pk_add_f32 v[80:81], v[94:95], v[80:81]
	v_pk_mul_f32 v[94:95], v[26:27], s[18:19] op_sel_hi:[1,0]
	v_pk_fma_f32 v[36:37], v[36:37], s[26:27], v[40:41] neg_lo:[1,0,0] neg_hi:[1,0,0]
	v_pk_fma_f32 v[40:41], v[46:47], s[18:19], v[42:43] neg_lo:[0,0,1] neg_hi:[0,0,1]
	v_pk_fma_f32 v[42:43], v[60:61], s[0:1], v[62:63]
	v_pk_fma_f32 v[60:61], v[4:5], s[4:5], v[8:9] op_sel:[0,0,1] op_sel_hi:[1,0,0] neg_lo:[0,0,1] neg_hi:[0,0,1]
	v_pk_fma_f32 v[62:63], v[4:5], s[4:5], v[8:9] op_sel:[0,0,1] op_sel_hi:[1,0,0]
	v_pk_mul_f32 v[4:5], v[12:13], s[18:19] op_sel_hi:[1,0]
	v_pk_fma_f32 v[106:107], v[22:23], s[20:21], v[94:95] op_sel:[0,0,1] op_sel_hi:[1,0,0]
	v_pk_fma_f32 v[94:95], v[22:23], s[20:21], v[94:95] op_sel:[0,0,1] op_sel_hi:[1,0,0] neg_lo:[0,0,1] neg_hi:[0,0,1]
	v_pk_fma_f32 v[8:9], v[10:11], s[20:21], v[4:5] op_sel:[0,0,1] op_sel_hi:[1,0,0] neg_lo:[0,0,1] neg_hi:[0,0,1]
	v_pk_fma_f32 v[10:11], v[10:11], s[20:21], v[4:5] op_sel:[0,0,1] op_sel_hi:[1,0,0]
	v_mov_b32_e32 v4, v60
	v_mov_b32_e32 v5, v63
	;; [unrolled: 1-line block ×4, first 2 shown]
	v_pk_add_f32 v[4:5], v[6:7], v[4:5]
	v_mov_b32_e32 v12, v8
	v_mov_b32_e32 v13, v11
	v_pk_add_f32 v[80:81], v[94:95], v[80:81]
	v_pk_mul_f32 v[94:95], v[24:25], s[2:3] op_sel_hi:[1,0]
	v_pk_add_f32 v[4:5], v[12:13], v[4:5]
	v_pk_mul_f32 v[12:13], v[16:17], s[28:29] op_sel_hi:[1,0]
	v_pk_fma_f32 v[110:111], v[20:21], s[16:17], v[94:95] op_sel:[0,0,1] op_sel_hi:[1,0,0]
	v_pk_fma_f32 v[94:95], v[20:21], s[16:17], v[94:95] op_sel:[0,0,1] op_sel_hi:[1,0,0] neg_lo:[0,0,1] neg_hi:[0,0,1]
	v_mov_b32_e32 v52, v48
	v_pk_fma_f32 v[16:17], v[14:15], s[26:27], v[12:13] op_sel:[0,0,1] op_sel_hi:[1,0,0] neg_lo:[0,0,1] neg_hi:[0,0,1]
	v_pk_fma_f32 v[12:13], v[14:15], s[26:27], v[12:13] op_sel:[0,0,1] op_sel_hi:[1,0,0]
	v_mov_b32_e32 v79, v95
	v_mov_b32_e32 v95, v111
	;; [unrolled: 1-line block ×3, first 2 shown]
	v_pk_add_f32 v[52:53], v[6:7], v[52:53]
	v_mov_b32_e32 v14, v16
	v_mov_b32_e32 v15, v13
	s_mov_b32 s4, s23
	v_pk_add_f32 v[80:81], v[94:95], v[80:81]
	v_pk_add_f32 v[52:53], v[98:99], v[52:53]
	v_mov_b32_e32 v50, v96
	v_pk_add_f32 v[4:5], v[14:15], v[4:5]
	v_pk_mul_f32 v[14:15], v[34:35], s[4:5] op_sel_hi:[1,0]
	ds_write2_b64 v103, v[44:45], v[80:81] offset0:4 offset1:5
	v_mov_b32_e32 v45, v58
	v_pk_add_f32 v[50:51], v[50:51], v[52:53]
	v_mov_b32_e32 v96, v100
	v_pk_fma_f32 v[34:35], v[18:19], s[22:23], v[14:15] op_sel:[0,0,1] op_sel_hi:[1,0,0] neg_lo:[0,0,1] neg_hi:[0,0,1]
	v_pk_fma_f32 v[14:15], v[18:19], s[22:23], v[14:15] op_sel:[0,0,1] op_sel_hi:[1,0,0]
	v_pk_fma_f32 v[44:45], v[56:57], s[2:3], v[44:45] neg_lo:[0,0,1] neg_hi:[0,0,1]
	v_pk_add_f32 v[50:51], v[96:97], v[50:51]
	v_mov_b32_e32 v100, v102
	v_mov_b32_e32 v18, v34
	;; [unrolled: 1-line block ×3, first 2 shown]
	v_pk_add_f32 v[50:51], v[100:101], v[50:51]
	v_mov_b32_e32 v48, v104
	v_mov_b32_e32 v73, v77
	v_pk_add_f32 v[4:5], v[18:19], v[4:5]
	v_pk_mul_f32 v[18:19], v[26:27], s[2:3] op_sel_hi:[1,0]
	v_mov_b32_e32 v63, v61
	v_mov_b32_e32 v44, v39
	v_pk_fma_f32 v[46:47], v[64:65], s[14:15], v[58:59] neg_lo:[0,0,1] neg_hi:[0,0,1]
	v_mov_b32_e32 v83, v85
	v_pk_add_f32 v[58:59], v[6:7], v[72:73]
	v_pk_fma_f32 v[26:27], v[22:23], s[16:17], v[18:19] op_sel:[0,0,1] op_sel_hi:[1,0,0] neg_lo:[0,0,1] neg_hi:[0,0,1]
	v_pk_fma_f32 v[18:19], v[22:23], s[16:17], v[18:19] op_sel:[0,0,1] op_sel_hi:[1,0,0]
	v_mov_b32_e32 v11, v9
	v_pk_add_f32 v[8:9], v[48:49], v[50:51]
	v_pk_add_f32 v[48:49], v[6:7], v[62:63]
	;; [unrolled: 1-line block ×3, first 2 shown]
	v_mov_b32_e32 v39, v37
	v_pk_add_f32 v[58:59], v[82:83], v[58:59]
	v_mov_b32_e32 v87, v89
	v_mov_b32_e32 v22, v26
	;; [unrolled: 1-line block ×3, first 2 shown]
	v_pk_add_f32 v[10:11], v[10:11], v[48:49]
	v_mov_b32_e32 v13, v17
	v_pk_add_f32 v[6:7], v[38:39], v[6:7]
	v_mov_b32_e32 v40, v43
	v_pk_fma_f32 v[56:57], v[66:67], s[36:37], v[68:69] neg_lo:[0,0,1] neg_hi:[0,0,1]
	v_mov_b32_e32 v53, v78
	v_pk_add_f32 v[58:59], v[86:87], v[58:59]
	v_mov_b32_e32 v91, v93
	v_pk_add_f32 v[4:5], v[22:23], v[4:5]
	v_pk_mul_f32 v[22:23], v[24:25], s[24:25] op_sel_hi:[1,0]
	v_pk_add_f32 v[10:11], v[12:13], v[10:11]
	v_mov_b32_e32 v15, v35
	v_pk_add_f32 v[6:7], v[40:41], v[6:7]
	v_mov_b32_e32 v43, v47
	v_mov_b32_e32 v108, v106
	v_pk_fma_f32 v[52:53], v[74:75], s[22:23], v[52:53] neg_lo:[1,0,0] neg_hi:[1,0,0]
	v_pk_add_f32 v[58:59], v[90:91], v[58:59]
	v_pk_fma_f32 v[24:25], v[20:21], s[0:1], v[22:23] op_sel:[0,0,1] op_sel_hi:[1,0,0] neg_lo:[0,0,1] neg_hi:[0,0,1]
	v_pk_fma_f32 v[20:21], v[20:21], s[0:1], v[22:23] op_sel:[0,0,1] op_sel_hi:[1,0,0]
	v_pk_add_f32 v[10:11], v[14:15], v[10:11]
	v_mov_b32_e32 v19, v27
	v_pk_add_f32 v[6:7], v[42:43], v[6:7]
	v_mov_b32_e32 v56, v71
	v_mov_b32_e32 v78, v110
	v_pk_add_f32 v[58:59], v[108:109], v[58:59]
	v_mov_b32_e32 v22, v24
	v_mov_b32_e32 v23, v21
	v_pk_add_f32 v[10:11], v[18:19], v[10:11]
	v_mov_b32_e32 v21, v25
	v_pk_add_f32 v[6:7], v[56:57], v[6:7]
	v_mov_b32_e32 v71, v53
	v_pk_add_f32 v[22:23], v[22:23], v[4:5]
	v_pk_add_f32 v[4:5], v[78:79], v[58:59]
	;; [unrolled: 1-line block ×4, first 2 shown]
	ds_write2_b64 v103, v[22:23], v[10:11] offset0:6 offset1:7
	ds_write2_b64 v103, v[4:5], v[6:7] offset0:8 offset1:9
	;; [unrolled: 1-line block ×3, first 2 shown]
	ds_write_b64 v103, v[8:9] offset:96
	s_waitcnt lgkmcnt(0)
	; wave barrier
	s_waitcnt lgkmcnt(0)
	ds_read2_b64 v[24:27], v33 offset0:13 offset1:26
	ds_read2_b64 v[20:23], v33 offset0:39 offset1:52
	;; [unrolled: 1-line block ×3, first 2 shown]
	ds_read_b64 v[34:35], v55
	ds_read_b64 v[36:37], v33 offset:728
	v_cmp_gt_u32_e64 s[0:1], 5, v32
                                        ; implicit-def: $vgpr12
	s_and_saveexec_b64 s[2:3], s[0:1]
	s_cbranch_execz .LBB0_23
; %bb.22:
	ds_read2_b64 v[4:7], v33 offset0:8 offset1:21
	ds_read2_b64 v[0:3], v33 offset0:34 offset1:47
	;; [unrolled: 1-line block ×4, first 2 shown]
.LBB0_23:
	s_or_b64 exec, exec, s[2:3]
	v_mul_u32_u24_e32 v38, 7, v32
	v_lshlrev_b32_e32 v38, 3, v38
	global_load_dwordx4 v[40:43], v38, s[8:9]
	global_load_dwordx4 v[44:47], v38, s[8:9] offset:16
	global_load_dwordx4 v[48:51], v38, s[8:9] offset:32
	global_load_dwordx2 v[52:53], v38, s[8:9] offset:48
	s_mov_b32 s4, 0x3f3504f3
	v_or_b32_e32 v38, 8, v32
	v_cmp_gt_u32_e64 s[2:3], 13, v38
	s_waitcnt lgkmcnt(0)
	; wave barrier
	s_waitcnt vmcnt(3) lgkmcnt(0)
	v_pk_mul_f32 v[56:57], v[40:41], v[24:25] op_sel:[0,1]
	v_pk_mul_f32 v[58:59], v[42:43], v[26:27] op_sel:[0,1]
	s_waitcnt vmcnt(2)
	v_pk_mul_f32 v[60:61], v[44:45], v[20:21] op_sel:[0,1]
	v_pk_mul_f32 v[62:63], v[46:47], v[22:23] op_sel:[0,1]
	s_waitcnt vmcnt(1)
	;; [unrolled: 3-line block ×3, first 2 shown]
	v_pk_mul_f32 v[68:69], v[52:53], v[36:37] op_sel:[0,1]
	v_pk_fma_f32 v[70:71], v[40:41], v[24:25], v[56:57] op_sel:[0,0,1] op_sel_hi:[1,1,0] neg_lo:[0,0,1] neg_hi:[0,0,1]
	v_pk_fma_f32 v[24:25], v[40:41], v[24:25], v[56:57] op_sel:[0,0,1] op_sel_hi:[1,0,0]
	v_pk_fma_f32 v[40:41], v[42:43], v[26:27], v[58:59] op_sel:[0,0,1] op_sel_hi:[1,1,0] neg_lo:[0,0,1] neg_hi:[0,0,1]
	v_pk_fma_f32 v[26:27], v[42:43], v[26:27], v[58:59] op_sel:[0,0,1] op_sel_hi:[1,0,0]
	;; [unrolled: 2-line block ×7, first 2 shown]
	v_mov_b32_e32 v71, v25
	v_mov_b32_e32 v41, v27
	;; [unrolled: 1-line block ×7, first 2 shown]
	v_pk_add_f32 v[16:17], v[34:35], v[44:45] neg_lo:[0,1] neg_hi:[0,1]
	v_pk_add_f32 v[18:19], v[40:41], v[48:49] neg_lo:[0,1] neg_hi:[0,1]
	;; [unrolled: 1-line block ×4, first 2 shown]
	v_pk_fma_f32 v[24:25], v[34:35], 2.0, v[16:17] op_sel_hi:[1,0,1] neg_lo:[0,0,1] neg_hi:[0,0,1]
	v_pk_fma_f32 v[26:27], v[40:41], 2.0, v[18:19] op_sel_hi:[1,0,1] neg_lo:[0,0,1] neg_hi:[0,0,1]
	;; [unrolled: 1-line block ×4, first 2 shown]
	v_pk_add_f32 v[40:41], v[16:17], v[18:19] op_sel:[0,1] op_sel_hi:[1,0] neg_lo:[0,1] neg_hi:[0,1]
	v_pk_add_f32 v[18:19], v[16:17], v[18:19] op_sel:[0,1] op_sel_hi:[1,0]
	v_pk_add_f32 v[42:43], v[20:21], v[22:23] op_sel:[0,1] op_sel_hi:[1,0] neg_lo:[0,1] neg_hi:[0,1]
	v_pk_add_f32 v[22:23], v[20:21], v[22:23] op_sel:[0,1] op_sel_hi:[1,0]
	v_pk_add_f32 v[26:27], v[24:25], v[26:27] neg_lo:[0,1] neg_hi:[0,1]
	v_pk_add_f32 v[36:37], v[34:35], v[36:37] neg_lo:[0,1] neg_hi:[0,1]
	v_mov_b32_e32 v41, v19
	v_mov_b32_e32 v43, v23
	v_pk_fma_f32 v[18:19], v[24:25], 2.0, v[26:27] op_sel_hi:[1,0,1] neg_lo:[0,0,1] neg_hi:[0,0,1]
	v_pk_fma_f32 v[22:23], v[34:35], 2.0, v[36:37] op_sel_hi:[1,0,1] neg_lo:[0,0,1] neg_hi:[0,0,1]
	;; [unrolled: 1-line block ×4, first 2 shown]
	v_pk_add_f32 v[24:25], v[26:27], v[36:37] op_sel:[0,1] op_sel_hi:[1,0] neg_lo:[0,1] neg_hi:[0,1]
	v_pk_add_f32 v[34:35], v[26:27], v[36:37] op_sel:[0,1] op_sel_hi:[1,0]
	v_pk_mul_f32 v[36:37], v[42:43], s[4:5] op_sel_hi:[1,0]
	v_pk_fma_f32 v[42:43], v[42:43], s[4:5], v[40:41] op_sel_hi:[1,0,1]
	v_pk_mul_f32 v[44:45], v[20:21], s[4:5] op_sel_hi:[1,0]
	v_pk_fma_f32 v[20:21], v[20:21], s[4:5], v[16:17] op_sel_hi:[1,0,1] neg_lo:[1,0,0] neg_hi:[1,0,0]
	v_mov_b32_e32 v25, v35
	v_pk_add_f32 v[34:35], v[42:43], v[36:37] op_sel:[0,1] op_sel_hi:[1,0] neg_lo:[0,1] neg_hi:[0,1]
	v_pk_add_f32 v[36:37], v[42:43], v[36:37] op_sel:[0,1] op_sel_hi:[1,0]
	v_pk_add_f32 v[42:43], v[20:21], v[44:45] op_sel:[0,1] op_sel_hi:[1,0] neg_lo:[0,1] neg_hi:[0,1]
	v_pk_add_f32 v[20:21], v[20:21], v[44:45] op_sel:[0,1] op_sel_hi:[1,0]
	v_mov_b32_e32 v35, v37
	v_pk_add_f32 v[22:23], v[18:19], v[22:23] neg_lo:[0,1] neg_hi:[0,1]
	v_pk_fma_f32 v[26:27], v[26:27], 2.0, v[24:25] op_sel_hi:[1,0,1] neg_lo:[0,0,1] neg_hi:[0,0,1]
	v_mov_b32_e32 v43, v21
	v_pk_fma_f32 v[20:21], v[40:41], 2.0, v[34:35] op_sel_hi:[1,0,1] neg_lo:[0,0,1] neg_hi:[0,0,1]
	v_pk_fma_f32 v[18:19], v[18:19], 2.0, v[22:23] op_sel_hi:[1,0,1] neg_lo:[0,0,1] neg_hi:[0,0,1]
	;; [unrolled: 1-line block ×3, first 2 shown]
	ds_write2_b64 v33, v[26:27], v[20:21] offset0:26 offset1:39
	ds_write2_b64 v33, v[22:23], v[42:43] offset0:52 offset1:65
	ds_write2_b64 v33, v[18:19], v[16:17] offset1:13
	ds_write2_b64 v33, v[24:25], v[34:35] offset0:78 offset1:91
	s_and_saveexec_b64 s[12:13], s[0:1]
	s_cbranch_execz .LBB0_25
; %bb.24:
	v_add_u32_e32 v16, -5, v32
	v_cndmask_b32_e64 v16, v16, v38, s[2:3]
	v_mul_i32_i24_e32 v16, 7, v16
	v_mov_b32_e32 v17, 0
	v_lshl_add_u64 v[34:35], v[16:17], 3, s[8:9]
	global_load_dwordx4 v[16:19], v[34:35], off
	global_load_dwordx4 v[20:23], v[34:35], off offset:32
	global_load_dwordx4 v[24:27], v[34:35], off offset:16
	global_load_dwordx2 v[36:37], v[34:35], off offset:48
	v_mov_b32_e32 v34, v13
	v_mov_b32_e32 v38, v7
	;; [unrolled: 1-line block ×4, first 2 shown]
	s_waitcnt vmcnt(3)
	v_pk_mul_f32 v[44:45], v[0:1], v[18:19] op_sel:[1,0]
	s_waitcnt vmcnt(2)
	v_pk_mul_f32 v[34:35], v[34:35], v[22:23] op_sel_hi:[0,1]
	s_waitcnt vmcnt(1)
	v_pk_mul_f32 v[46:47], v[8:9], v[26:27] op_sel:[1,0]
	v_pk_mul_f32 v[38:39], v[38:39], v[16:17] op_sel_hi:[0,1]
	v_pk_mul_f32 v[40:41], v[40:41], v[20:21] op_sel_hi:[0,1]
	v_pk_mul_f32 v[48:49], v[2:3], v[24:25] op_sel:[1,0]
	s_waitcnt vmcnt(0)
	v_pk_mul_f32 v[42:43], v[42:43], v[36:37] op_sel_hi:[0,1]
	v_pk_fma_f32 v[50:51], v[8:9], v[26:27], v[46:47] op_sel:[0,0,1] op_sel_hi:[1,1,0] neg_lo:[0,0,1] neg_hi:[0,0,1]
	v_pk_fma_f32 v[8:9], v[8:9], v[26:27], v[46:47] op_sel:[0,0,1] op_sel_hi:[0,1,0]
	v_pk_fma_f32 v[26:27], v[0:1], v[18:19], v[44:45] op_sel:[0,0,1] op_sel_hi:[1,1,0] neg_lo:[0,0,1] neg_hi:[0,0,1]
	v_pk_fma_f32 v[0:1], v[0:1], v[18:19], v[44:45] op_sel:[0,0,1] op_sel_hi:[0,1,0]
	;; [unrolled: 2-line block ×7, first 2 shown]
	v_mov_b32_e32 v51, v9
	v_mov_b32_e32 v27, v1
	;; [unrolled: 1-line block ×7, first 2 shown]
	v_pk_add_f32 v[0:1], v[4:5], v[50:51] neg_lo:[0,1] neg_hi:[0,1]
	v_pk_add_f32 v[2:3], v[26:27], v[18:19] neg_lo:[0,1] neg_hi:[0,1]
	;; [unrolled: 1-line block ×4, first 2 shown]
	v_pk_fma_f32 v[4:5], v[4:5], 2.0, v[0:1] op_sel_hi:[1,0,1] neg_lo:[0,0,1] neg_hi:[0,0,1]
	v_pk_fma_f32 v[10:11], v[26:27], 2.0, v[2:3] op_sel_hi:[1,0,1] neg_lo:[0,0,1] neg_hi:[0,0,1]
	v_pk_fma_f32 v[12:13], v[34:35], 2.0, v[8:9] op_sel_hi:[1,0,1] neg_lo:[0,0,1] neg_hi:[0,0,1]
	v_pk_fma_f32 v[14:15], v[22:23], 2.0, v[6:7] op_sel_hi:[1,0,1] neg_lo:[0,0,1] neg_hi:[0,0,1]
	v_pk_add_f32 v[16:17], v[0:1], v[2:3] op_sel:[0,1] op_sel_hi:[1,0] neg_lo:[0,1] neg_hi:[0,1]
	v_pk_add_f32 v[2:3], v[0:1], v[2:3] op_sel:[0,1] op_sel_hi:[1,0]
	v_pk_add_f32 v[18:19], v[8:9], v[6:7] op_sel:[0,1] op_sel_hi:[1,0] neg_lo:[0,1] neg_hi:[0,1]
	v_pk_add_f32 v[6:7], v[8:9], v[6:7] op_sel:[0,1] op_sel_hi:[1,0]
	v_pk_add_f32 v[10:11], v[4:5], v[10:11] neg_lo:[0,1] neg_hi:[0,1]
	v_pk_add_f32 v[14:15], v[12:13], v[14:15] neg_lo:[0,1] neg_hi:[0,1]
	v_mov_b32_e32 v17, v3
	v_mov_b32_e32 v19, v7
	v_pk_fma_f32 v[2:3], v[4:5], 2.0, v[10:11] op_sel_hi:[1,0,1] neg_lo:[0,0,1] neg_hi:[0,0,1]
	v_pk_fma_f32 v[4:5], v[12:13], 2.0, v[14:15] op_sel_hi:[1,0,1] neg_lo:[0,0,1] neg_hi:[0,0,1]
	;; [unrolled: 1-line block ×4, first 2 shown]
	v_pk_add_f32 v[8:9], v[10:11], v[14:15] op_sel:[0,1] op_sel_hi:[1,0] neg_lo:[0,1] neg_hi:[0,1]
	v_pk_add_f32 v[12:13], v[10:11], v[14:15] op_sel:[0,1] op_sel_hi:[1,0]
	v_pk_mul_f32 v[14:15], v[18:19], s[4:5] op_sel_hi:[1,0]
	v_pk_fma_f32 v[18:19], v[18:19], s[4:5], v[16:17] op_sel_hi:[1,0,1]
	v_pk_mul_f32 v[20:21], v[6:7], s[4:5] op_sel_hi:[1,0]
	v_pk_fma_f32 v[6:7], v[6:7], s[4:5], v[0:1] op_sel_hi:[1,0,1] neg_lo:[1,0,0] neg_hi:[1,0,0]
	v_mov_b32_e32 v9, v13
	v_pk_add_f32 v[12:13], v[18:19], v[14:15] op_sel:[0,1] op_sel_hi:[1,0] neg_lo:[0,1] neg_hi:[0,1]
	v_pk_add_f32 v[14:15], v[18:19], v[14:15] op_sel:[0,1] op_sel_hi:[1,0]
	v_pk_add_f32 v[18:19], v[6:7], v[20:21] op_sel:[0,1] op_sel_hi:[1,0] neg_lo:[0,1] neg_hi:[0,1]
	v_pk_add_f32 v[6:7], v[6:7], v[20:21] op_sel:[0,1] op_sel_hi:[1,0]
	v_mov_b32_e32 v13, v15
	v_pk_add_f32 v[4:5], v[2:3], v[4:5] neg_lo:[0,1] neg_hi:[0,1]
	v_pk_fma_f32 v[10:11], v[10:11], 2.0, v[8:9] op_sel_hi:[1,0,1] neg_lo:[0,0,1] neg_hi:[0,0,1]
	v_mov_b32_e32 v19, v7
	v_pk_fma_f32 v[6:7], v[16:17], 2.0, v[12:13] op_sel_hi:[1,0,1] neg_lo:[0,0,1] neg_hi:[0,0,1]
	v_pk_fma_f32 v[2:3], v[2:3], 2.0, v[4:5] op_sel_hi:[1,0,1] neg_lo:[0,0,1] neg_hi:[0,0,1]
	;; [unrolled: 1-line block ×3, first 2 shown]
	ds_write2_b64 v33, v[10:11], v[6:7] offset0:34 offset1:47
	ds_write2_b64 v33, v[4:5], v[18:19] offset0:60 offset1:73
	;; [unrolled: 1-line block ×4, first 2 shown]
.LBB0_25:
	s_or_b64 exec, exec, s[12:13]
	s_waitcnt lgkmcnt(0)
	; wave barrier
	s_waitcnt lgkmcnt(0)
	s_and_saveexec_b64 s[0:1], vcc
	s_cbranch_execz .LBB0_27
; %bb.26:
	v_mul_lo_u32 v0, s11, v30
	v_mul_lo_u32 v1, s10, v31
	v_mad_u64_u32 v[4:5], s[0:1], s10, v30, 0
	v_lshl_add_u32 v10, v32, 3, v54
	v_add3_u32 v5, v5, v1, v0
	ds_read2_b64 v[0:3], v10 offset1:8
	v_lshl_add_u64 v[4:5], v[4:5], 3, s[6:7]
	v_mov_b32_e32 v33, 0
	v_lshl_add_u64 v[8:9], v[28:29], 3, v[4:5]
	v_lshl_add_u64 v[4:5], v[32:33], 3, v[8:9]
	s_waitcnt lgkmcnt(0)
	global_store_dwordx2 v[4:5], v[0:1], off
	ds_read2_b64 v[4:7], v10 offset0:16 offset1:24
	v_add_u32_e32 v0, 8, v32
	v_mov_b32_e32 v1, v33
	v_lshl_add_u64 v[0:1], v[0:1], 3, v[8:9]
	global_store_dwordx2 v[0:1], v[2:3], off
	v_add_u32_e32 v0, 16, v32
	v_mov_b32_e32 v1, v33
	v_lshl_add_u64 v[0:1], v[0:1], 3, v[8:9]
	s_waitcnt lgkmcnt(0)
	global_store_dwordx2 v[0:1], v[4:5], off
	v_add_u32_e32 v0, 24, v32
	v_mov_b32_e32 v1, v33
	v_lshl_add_u64 v[4:5], v[0:1], 3, v[8:9]
	ds_read2_b64 v[0:3], v10 offset0:32 offset1:40
	global_store_dwordx2 v[4:5], v[6:7], off
	v_add_u32_e32 v4, 32, v32
	v_mov_b32_e32 v5, v33
	v_lshl_add_u64 v[4:5], v[4:5], 3, v[8:9]
	s_waitcnt lgkmcnt(0)
	global_store_dwordx2 v[4:5], v[0:1], off
	ds_read2_b64 v[4:7], v10 offset0:48 offset1:56
	v_add_u32_e32 v0, 40, v32
	v_mov_b32_e32 v1, v33
	v_lshl_add_u64 v[0:1], v[0:1], 3, v[8:9]
	global_store_dwordx2 v[0:1], v[2:3], off
	v_add_u32_e32 v0, 48, v32
	v_mov_b32_e32 v1, v33
	v_lshl_add_u64 v[0:1], v[0:1], 3, v[8:9]
	s_waitcnt lgkmcnt(0)
	global_store_dwordx2 v[0:1], v[4:5], off
	v_add_u32_e32 v0, 56, v32
	v_mov_b32_e32 v1, v33
	v_lshl_add_u64 v[4:5], v[0:1], 3, v[8:9]
	ds_read2_b64 v[0:3], v10 offset0:64 offset1:72
	global_store_dwordx2 v[4:5], v[6:7], off
	v_add_u32_e32 v4, 64, v32
	v_mov_b32_e32 v5, v33
	v_lshl_add_u64 v[4:5], v[4:5], 3, v[8:9]
	s_waitcnt lgkmcnt(0)
	global_store_dwordx2 v[4:5], v[0:1], off
	ds_read2_b64 v[4:7], v10 offset0:80 offset1:88
	v_add_u32_e32 v0, 0x48, v32
	v_mov_b32_e32 v1, v33
	v_lshl_add_u64 v[0:1], v[0:1], 3, v[8:9]
	global_store_dwordx2 v[0:1], v[2:3], off
	v_add_u32_e32 v0, 0x50, v32
	v_mov_b32_e32 v1, v33
	ds_read_b64 v[2:3], v10 offset:768
	v_lshl_add_u64 v[0:1], v[0:1], 3, v[8:9]
	s_waitcnt lgkmcnt(1)
	global_store_dwordx2 v[0:1], v[4:5], off
	v_add_u32_e32 v0, 0x58, v32
	v_mov_b32_e32 v1, v33
	v_lshl_add_u64 v[0:1], v[0:1], 3, v[8:9]
	v_add_u32_e32 v32, 0x60, v32
	global_store_dwordx2 v[0:1], v[6:7], off
	v_lshl_add_u64 v[0:1], v[32:33], 3, v[8:9]
	s_waitcnt lgkmcnt(0)
	global_store_dwordx2 v[0:1], v[2:3], off
.LBB0_27:
	s_endpgm
	.section	.rodata,"a",@progbits
	.p2align	6, 0x0
	.amdhsa_kernel fft_rtc_fwd_len104_factors_13_8_wgs_64_tpt_8_halfLds_sp_op_CI_CI_unitstride_sbrr_C2R_dirReg
		.amdhsa_group_segment_fixed_size 0
		.amdhsa_private_segment_fixed_size 0
		.amdhsa_kernarg_size 104
		.amdhsa_user_sgpr_count 2
		.amdhsa_user_sgpr_dispatch_ptr 0
		.amdhsa_user_sgpr_queue_ptr 0
		.amdhsa_user_sgpr_kernarg_segment_ptr 1
		.amdhsa_user_sgpr_dispatch_id 0
		.amdhsa_user_sgpr_kernarg_preload_length 0
		.amdhsa_user_sgpr_kernarg_preload_offset 0
		.amdhsa_user_sgpr_private_segment_size 0
		.amdhsa_uses_dynamic_stack 0
		.amdhsa_enable_private_segment 0
		.amdhsa_system_sgpr_workgroup_id_x 1
		.amdhsa_system_sgpr_workgroup_id_y 0
		.amdhsa_system_sgpr_workgroup_id_z 0
		.amdhsa_system_sgpr_workgroup_info 0
		.amdhsa_system_vgpr_workitem_id 0
		.amdhsa_next_free_vgpr 112
		.amdhsa_next_free_sgpr 42
		.amdhsa_accum_offset 112
		.amdhsa_reserve_vcc 1
		.amdhsa_float_round_mode_32 0
		.amdhsa_float_round_mode_16_64 0
		.amdhsa_float_denorm_mode_32 3
		.amdhsa_float_denorm_mode_16_64 3
		.amdhsa_dx10_clamp 1
		.amdhsa_ieee_mode 1
		.amdhsa_fp16_overflow 0
		.amdhsa_tg_split 0
		.amdhsa_exception_fp_ieee_invalid_op 0
		.amdhsa_exception_fp_denorm_src 0
		.amdhsa_exception_fp_ieee_div_zero 0
		.amdhsa_exception_fp_ieee_overflow 0
		.amdhsa_exception_fp_ieee_underflow 0
		.amdhsa_exception_fp_ieee_inexact 0
		.amdhsa_exception_int_div_zero 0
	.end_amdhsa_kernel
	.text
.Lfunc_end0:
	.size	fft_rtc_fwd_len104_factors_13_8_wgs_64_tpt_8_halfLds_sp_op_CI_CI_unitstride_sbrr_C2R_dirReg, .Lfunc_end0-fft_rtc_fwd_len104_factors_13_8_wgs_64_tpt_8_halfLds_sp_op_CI_CI_unitstride_sbrr_C2R_dirReg
                                        ; -- End function
	.section	.AMDGPU.csdata,"",@progbits
; Kernel info:
; codeLenInByte = 7144
; NumSgprs: 48
; NumVgprs: 112
; NumAgprs: 0
; TotalNumVgprs: 112
; ScratchSize: 0
; MemoryBound: 0
; FloatMode: 240
; IeeeMode: 1
; LDSByteSize: 0 bytes/workgroup (compile time only)
; SGPRBlocks: 5
; VGPRBlocks: 13
; NumSGPRsForWavesPerEU: 48
; NumVGPRsForWavesPerEU: 112
; AccumOffset: 112
; Occupancy: 4
; WaveLimiterHint : 1
; COMPUTE_PGM_RSRC2:SCRATCH_EN: 0
; COMPUTE_PGM_RSRC2:USER_SGPR: 2
; COMPUTE_PGM_RSRC2:TRAP_HANDLER: 0
; COMPUTE_PGM_RSRC2:TGID_X_EN: 1
; COMPUTE_PGM_RSRC2:TGID_Y_EN: 0
; COMPUTE_PGM_RSRC2:TGID_Z_EN: 0
; COMPUTE_PGM_RSRC2:TIDIG_COMP_CNT: 0
; COMPUTE_PGM_RSRC3_GFX90A:ACCUM_OFFSET: 27
; COMPUTE_PGM_RSRC3_GFX90A:TG_SPLIT: 0
	.text
	.p2alignl 6, 3212836864
	.fill 256, 4, 3212836864
	.type	__hip_cuid_8fd41f67713e1783,@object ; @__hip_cuid_8fd41f67713e1783
	.section	.bss,"aw",@nobits
	.globl	__hip_cuid_8fd41f67713e1783
__hip_cuid_8fd41f67713e1783:
	.byte	0                               ; 0x0
	.size	__hip_cuid_8fd41f67713e1783, 1

	.ident	"AMD clang version 19.0.0git (https://github.com/RadeonOpenCompute/llvm-project roc-6.4.0 25133 c7fe45cf4b819c5991fe208aaa96edf142730f1d)"
	.section	".note.GNU-stack","",@progbits
	.addrsig
	.addrsig_sym __hip_cuid_8fd41f67713e1783
	.amdgpu_metadata
---
amdhsa.kernels:
  - .agpr_count:     0
    .args:
      - .actual_access:  read_only
        .address_space:  global
        .offset:         0
        .size:           8
        .value_kind:     global_buffer
      - .offset:         8
        .size:           8
        .value_kind:     by_value
      - .actual_access:  read_only
        .address_space:  global
        .offset:         16
        .size:           8
        .value_kind:     global_buffer
      - .actual_access:  read_only
        .address_space:  global
        .offset:         24
        .size:           8
        .value_kind:     global_buffer
      - .actual_access:  read_only
        .address_space:  global
        .offset:         32
        .size:           8
        .value_kind:     global_buffer
      - .offset:         40
        .size:           8
        .value_kind:     by_value
      - .actual_access:  read_only
        .address_space:  global
        .offset:         48
        .size:           8
        .value_kind:     global_buffer
      - .actual_access:  read_only
        .address_space:  global
        .offset:         56
        .size:           8
        .value_kind:     global_buffer
      - .offset:         64
        .size:           4
        .value_kind:     by_value
      - .actual_access:  read_only
        .address_space:  global
        .offset:         72
        .size:           8
        .value_kind:     global_buffer
      - .actual_access:  read_only
        .address_space:  global
        .offset:         80
        .size:           8
        .value_kind:     global_buffer
      - .actual_access:  read_only
        .address_space:  global
        .offset:         88
        .size:           8
        .value_kind:     global_buffer
      - .actual_access:  write_only
        .address_space:  global
        .offset:         96
        .size:           8
        .value_kind:     global_buffer
    .group_segment_fixed_size: 0
    .kernarg_segment_align: 8
    .kernarg_segment_size: 104
    .language:       OpenCL C
    .language_version:
      - 2
      - 0
    .max_flat_workgroup_size: 64
    .name:           fft_rtc_fwd_len104_factors_13_8_wgs_64_tpt_8_halfLds_sp_op_CI_CI_unitstride_sbrr_C2R_dirReg
    .private_segment_fixed_size: 0
    .sgpr_count:     48
    .sgpr_spill_count: 0
    .symbol:         fft_rtc_fwd_len104_factors_13_8_wgs_64_tpt_8_halfLds_sp_op_CI_CI_unitstride_sbrr_C2R_dirReg.kd
    .uniform_work_group_size: 1
    .uses_dynamic_stack: false
    .vgpr_count:     112
    .vgpr_spill_count: 0
    .wavefront_size: 64
amdhsa.target:   amdgcn-amd-amdhsa--gfx950
amdhsa.version:
  - 1
  - 2
...

	.end_amdgpu_metadata
